;; amdgpu-corpus repo=ROCm/rocFFT kind=compiled arch=gfx1030 opt=O3
	.text
	.amdgcn_target "amdgcn-amd-amdhsa--gfx1030"
	.amdhsa_code_object_version 6
	.protected	fft_rtc_fwd_len256_factors_4_4_4_4_wgs_256_tpt_32_dp_op_CI_CI_sbrc_xy_z_unaligned_dirReg ; -- Begin function fft_rtc_fwd_len256_factors_4_4_4_4_wgs_256_tpt_32_dp_op_CI_CI_sbrc_xy_z_unaligned_dirReg
	.globl	fft_rtc_fwd_len256_factors_4_4_4_4_wgs_256_tpt_32_dp_op_CI_CI_sbrc_xy_z_unaligned_dirReg
	.p2align	8
	.type	fft_rtc_fwd_len256_factors_4_4_4_4_wgs_256_tpt_32_dp_op_CI_CI_sbrc_xy_z_unaligned_dirReg,@function
fft_rtc_fwd_len256_factors_4_4_4_4_wgs_256_tpt_32_dp_op_CI_CI_sbrc_xy_z_unaligned_dirReg: ; @fft_rtc_fwd_len256_factors_4_4_4_4_wgs_256_tpt_32_dp_op_CI_CI_sbrc_xy_z_unaligned_dirReg
; %bb.0:
	s_clause 0x1
	s_load_dwordx4 s[0:3], s[4:5], 0x10
	s_load_dwordx2 s[24:25], s[4:5], 0x20
	s_waitcnt lgkmcnt(0)
	s_load_dwordx4 s[12:15], s[0:1], 0x8
	s_clause 0x1
	s_load_dwordx4 s[16:19], s[2:3], 0x0
	s_load_dwordx2 s[20:21], s[2:3], 0x10
	s_waitcnt lgkmcnt(0)
	s_add_i32 s0, s14, -1
	s_lshr_b32 s0, s0, 3
	s_add_i32 s0, s0, 1
	s_mul_i32 s0, s0, s12
	v_cvt_f32_u32_e32 v1, s0
	s_sub_i32 s7, 0, s0
	v_rcp_iflag_f32_e32 v1, v1
	v_mul_f32_e32 v1, 0x4f7ffffe, v1
	v_cvt_u32_f32_e32 v1, v1
	v_readfirstlane_b32 s1, v1
	v_cvt_f32_u32_e32 v1, s12
	s_mul_i32 s7, s7, s1
	s_mul_hi_u32 s7, s1, s7
	s_add_i32 s1, s1, s7
	s_mul_hi_u32 s1, s6, s1
	s_mul_i32 s7, s1, s0
	s_add_i32 s8, s1, 1
	s_sub_i32 s7, s6, s7
	s_sub_i32 s9, s7, s0
	s_cmp_ge_u32 s7, s0
	s_cselect_b32 s1, s8, s1
	s_cselect_b32 s7, s9, s7
	s_add_i32 s8, s1, 1
	s_cmp_ge_u32 s7, s0
	s_mov_b32 s7, 0
	s_cselect_b32 s15, s8, s1
	s_mov_b32 s9, s7
	s_mul_i32 s0, s15, s0
	s_sub_i32 s8, s6, s0
	v_cmp_lt_u64_e64 s0, s[8:9], s[12:13]
	s_and_b32 vcc_lo, exec_lo, s0
	s_mov_b64 s[0:1], 0
	s_cbranch_vccnz .LBB0_2
; %bb.1:
	v_rcp_iflag_f32_e32 v2, v1
	s_sub_i32 s1, 0, s12
	v_mul_f32_e32 v2, 0x4f7ffffe, v2
	v_cvt_u32_f32_e32 v2, v2
	v_readfirstlane_b32 s0, v2
	s_mul_i32 s1, s1, s0
	s_mul_hi_u32 s1, s0, s1
	s_add_i32 s0, s0, s1
	s_mul_hi_u32 s0, s8, s0
	s_mul_i32 s1, s0, s12
	s_sub_i32 s1, s8, s1
	s_add_i32 s8, s0, 1
	s_sub_i32 s9, s1, s12
	s_cmp_ge_u32 s1, s12
	s_cselect_b32 s0, s8, s0
	s_cselect_b32 s1, s9, s1
	s_add_i32 s8, s0, 1
	s_cmp_ge_u32 s1, s12
	s_cselect_b32 s0, s8, s0
.LBB0_2:
	s_load_dwordx2 s[22:23], s[4:5], 0x58
	v_cmp_lt_u64_e64 s1, s[6:7], s[12:13]
	s_and_b32 vcc_lo, exec_lo, s1
	s_cbranch_vccnz .LBB0_4
; %bb.3:
	v_rcp_iflag_f32_e32 v1, v1
	s_sub_i32 s7, 0, s12
	v_mul_f32_e32 v1, 0x4f7ffffe, v1
	v_cvt_u32_f32_e32 v1, v1
	v_readfirstlane_b32 s1, v1
	s_mul_i32 s7, s7, s1
	s_mul_hi_u32 s7, s1, s7
	s_add_i32 s1, s1, s7
	s_mul_hi_u32 s1, s6, s1
	s_mul_i32 s1, s1, s12
	s_sub_i32 s1, s6, s1
	s_sub_i32 s6, s1, s12
	s_cmp_ge_u32 s1, s12
	s_cselect_b32 s1, s6, s1
	s_sub_i32 s6, s1, s12
	s_cmp_ge_u32 s1, s12
	s_cselect_b32 s6, s6, s1
.LBB0_4:
	s_load_dwordx4 s[8:11], s[4:5], 0x0
	s_lshl_b32 s26, s0, 3
	s_mul_i32 s7, s6, s18
	s_mul_i32 s12, s26, s20
	s_add_i32 s7, s7, s12
	s_waitcnt lgkmcnt(0)
	s_lshl_b64 s[0:1], s[10:11], 3
	s_add_u32 s2, s2, s0
	s_addc_u32 s3, s3, s1
	s_load_dwordx2 s[2:3], s[2:3], 0x0
	s_waitcnt lgkmcnt(0)
	s_mul_i32 s3, s3, s15
	s_mul_hi_u32 s10, s2, s15
	s_mul_i32 s2, s2, s15
	s_add_i32 s10, s10, s3
	s_add_u32 s18, s2, s7
	s_addc_u32 s19, s10, 0
	s_add_u32 s10, s24, s0
	s_addc_u32 s11, s25, s1
	s_clause 0x2
	s_load_dwordx4 s[0:3], s[24:25], 0x0
	s_load_dwordx2 s[12:13], s[24:25], 0x10
	s_load_dwordx2 s[10:11], s[10:11], 0x0
	s_waitcnt lgkmcnt(0)
	s_add_i32 s3, s26, 8
	s_mov_b32 s7, -1
	s_cmp_le_u32 s3, s14
	s_cselect_b32 s3, -1, 0
	s_and_b32 vcc_lo, exec_lo, s3
	s_cbranch_vccnz .LBB0_9
; %bb.5:
	s_cmp_lt_u32 s26, s14
	s_cselect_b32 s13, -1, 0
	s_and_saveexec_b32 s7, s13
	s_cbranch_execz .LBB0_8
; %bb.6:
	v_mad_u64_u32 v[1:2], null, s16, v0, 0
	s_lshl_b64 s[24:25], s[18:19], 4
	s_add_u32 s13, s22, s24
	s_addc_u32 s21, s23, s25
	v_mad_u64_u32 v[2:3], null, s17, v0, v[2:3]
	v_lshl_add_u32 v3, v0, 7, 0
	v_lshlrev_b64 v[4:5], 4, v[1:2]
	v_mov_b32_e32 v2, 0
	v_mov_b32_e32 v1, v2
	v_add_co_u32 v4, vcc_lo, s13, v4
	v_add_co_ci_u32_e32 v5, vcc_lo, s21, v5, vcc_lo
	s_mov_b32 s13, 0
	s_mov_b32 s21, 0
	.p2align	6
.LBB0_7:                                ; =>This Inner Loop Header: Depth=1
	v_lshlrev_b64 v[6:7], 4, v[1:2]
	s_add_i32 s21, s21, 1
	v_add_nc_u32_e32 v1, s20, v1
	v_add_nc_u32_e64 v10, s26, s21
	v_add_co_u32 v6, vcc_lo, v4, v6
	v_add_co_ci_u32_e32 v7, vcc_lo, v5, v7, vcc_lo
	v_cmp_le_u32_e32 vcc_lo, s14, v10
	global_load_dwordx4 v[6:9], v[6:7], off
	s_or_b32 s13, vcc_lo, s13
	s_waitcnt vmcnt(0)
	ds_write_b128 v3, v[6:9]
	v_add_nc_u32_e32 v3, 16, v3
	s_andn2_b32 exec_lo, exec_lo, s13
	s_cbranch_execnz .LBB0_7
.LBB0_8:
	s_or_b32 exec_lo, exec_lo, s7
	s_mov_b32 s7, 0
.LBB0_9:
	s_andn2_b32 vcc_lo, exec_lo, s7
	s_cbranch_vccnz .LBB0_11
; %bb.10:
	v_mad_u64_u32 v[1:2], null, s16, v0, 0
	s_mov_b32 s21, 0
	v_lshl_add_u32 v33, v0, 7, 0
	s_mov_b32 s25, s21
	s_mov_b32 s29, s21
	;; [unrolled: 1-line block ×3, first 2 shown]
	v_mad_u64_u32 v[2:3], null, s17, v0, v[2:3]
	s_lshl_b64 s[16:17], s[18:19], 4
	s_mov_b32 s19, s21
	s_add_u32 s7, s22, s16
	s_addc_u32 s13, s23, s17
	s_lshl_b64 s[16:17], s[20:21], 4
	s_add_i32 s18, s20, s20
	v_lshlrev_b64 v[1:2], 4, v[1:2]
	s_add_i32 s24, s18, s20
	s_lshl_b64 s[18:19], s[18:19], 4
	s_lshl_b64 s[22:23], s[24:25], 4
	s_add_i32 s28, s24, s20
	s_lshl_b64 s[24:25], s[28:29], 4
	v_add_co_u32 v9, vcc_lo, s7, v1
	v_add_co_ci_u32_e32 v10, vcc_lo, s13, v2, vcc_lo
	s_add_i32 s30, s28, s20
	v_add_co_u32 v5, vcc_lo, v9, s16
	v_add_co_ci_u32_e32 v6, vcc_lo, s17, v10, vcc_lo
	v_add_co_u32 v11, vcc_lo, v9, s18
	v_add_co_ci_u32_e32 v12, vcc_lo, s19, v10, vcc_lo
	;; [unrolled: 2-line block ×3, first 2 shown]
	v_add_co_u32 v17, vcc_lo, v9, s24
	s_lshl_b64 s[16:17], s[30:31], 4
	v_add_co_ci_u32_e32 v18, vcc_lo, s25, v10, vcc_lo
	s_add_i32 s18, s30, s20
	s_mov_b32 s19, s21
	v_add_co_u32 v21, vcc_lo, v9, s16
	v_add_co_ci_u32_e32 v22, vcc_lo, s17, v10, vcc_lo
	s_lshl_b64 s[16:17], s[18:19], 4
	s_add_i32 s20, s18, s20
	v_add_co_u32 v25, vcc_lo, v9, s16
	v_add_co_ci_u32_e32 v26, vcc_lo, s17, v10, vcc_lo
	s_lshl_b64 s[16:17], s[20:21], 4
	s_clause 0x1
	global_load_dwordx4 v[1:4], v[9:10], off
	global_load_dwordx4 v[5:8], v[5:6], off
	v_add_co_u32 v29, vcc_lo, v9, s16
	v_add_co_ci_u32_e32 v30, vcc_lo, s17, v10, vcc_lo
	s_clause 0x5
	global_load_dwordx4 v[9:12], v[11:12], off
	global_load_dwordx4 v[13:16], v[13:14], off
	;; [unrolled: 1-line block ×6, first 2 shown]
	s_waitcnt vmcnt(7)
	ds_write_b128 v33, v[1:4]
	s_waitcnt vmcnt(6)
	ds_write_b128 v33, v[5:8] offset:16
	s_waitcnt vmcnt(5)
	ds_write_b128 v33, v[9:12] offset:32
	s_waitcnt vmcnt(4)
	ds_write_b128 v33, v[13:16] offset:48
	s_waitcnt vmcnt(3)
	ds_write_b128 v33, v[17:20] offset:64
	s_waitcnt vmcnt(2)
	ds_write_b128 v33, v[21:24] offset:80
	s_waitcnt vmcnt(1)
	ds_write_b128 v33, v[25:28] offset:96
	s_waitcnt vmcnt(0)
	ds_write_b128 v33, v[29:32] offset:112
.LBB0_11:
	v_lshrrev_b32_e32 v2, 3, v0
	v_and_b32_e32 v1, 7, v0
	s_waitcnt lgkmcnt(0)
	s_barrier
	buffer_gl0_inv
	v_lshlrev_b32_e32 v3, 7, v2
	v_lshlrev_b32_e32 v4, 4, v1
	v_bfe_u32 v60, v0, 3, 2
	v_bfe_u32 v0, v0, 3, 4
	s_mov_b32 s7, 0
	v_add3_u32 v3, 0, v3, v4
	ds_read_b128 v[5:8], v3 offset:16384
	ds_read_b128 v[9:12], v3
	ds_read_b128 v[13:16], v3 offset:8192
	ds_read_b128 v[17:20], v3 offset:24576
	ds_read_b128 v[21:24], v3 offset:4096
	ds_read_b128 v[25:28], v3 offset:20480
	ds_read_b128 v[29:32], v3 offset:12288
	ds_read_b128 v[33:36], v3 offset:28672
	s_waitcnt lgkmcnt(0)
	s_barrier
	buffer_gl0_inv
	v_add_f64 v[5:6], v[9:10], -v[5:6]
	v_add_f64 v[37:38], v[11:12], -v[7:8]
	;; [unrolled: 1-line block ×8, first 2 shown]
	v_fma_f64 v[33:34], v[9:10], 2.0, -v[5:6]
	v_fma_f64 v[35:36], v[11:12], 2.0, -v[37:38]
	;; [unrolled: 1-line block ×8, first 2 shown]
	v_add_f64 v[8:9], v[5:6], -v[7:8]
	v_add_f64 v[10:11], v[37:38], v[17:18]
	v_add_f64 v[12:13], v[39:40], -v[19:20]
	v_add_nc_u32_e32 v7, 32, v2
	v_add_f64 v[16:17], v[33:34], -v[27:28]
	v_add_f64 v[18:19], v[35:36], -v[14:15]
	v_add_f64 v[14:15], v[41:42], v[25:26]
	v_add_f64 v[20:21], v[43:44], -v[21:22]
	v_add_f64 v[22:23], v[45:46], -v[23:24]
	v_fma_f64 v[24:25], v[5:6], 2.0, -v[8:9]
	v_fma_f64 v[26:27], v[37:38], 2.0, -v[10:11]
	;; [unrolled: 1-line block ×3, first 2 shown]
	v_mul_u32_u24_e32 v5, 3, v60
	v_lshlrev_b32_e32 v6, 9, v7
	v_mad_u32_u24 v40, 0x180, v2, v3
	v_lshlrev_b32_e32 v5, 4, v5
	v_add3_u32 v61, 0, v6, v4
	v_fma_f64 v[32:33], v[33:34], 2.0, -v[16:17]
	v_fma_f64 v[34:35], v[35:36], 2.0, -v[18:19]
	;; [unrolled: 1-line block ×5, first 2 shown]
	ds_write_b128 v40, v[8:11] offset:384
	ds_write_b128 v40, v[24:27] offset:128
	;; [unrolled: 1-line block ×3, first 2 shown]
	ds_write_b128 v40, v[32:35]
	ds_write_b128 v61, v[36:39]
	ds_write_b128 v61, v[28:31] offset:128
	ds_write_b128 v61, v[20:23] offset:256
	;; [unrolled: 1-line block ×3, first 2 shown]
	s_waitcnt lgkmcnt(0)
	s_barrier
	buffer_gl0_inv
	s_clause 0x2
	global_load_dwordx4 v[8:11], v5, s[8:9]
	global_load_dwordx4 v[12:15], v5, s[8:9] offset:16
	global_load_dwordx4 v[16:19], v5, s[8:9] offset:32
	ds_read_b128 v[20:23], v3 offset:8192
	ds_read_b128 v[24:27], v3 offset:12288
	ds_read_b128 v[28:31], v3 offset:16384
	ds_read_b128 v[32:35], v3 offset:24576
	ds_read_b128 v[40:43], v3 offset:28672
	ds_read_b128 v[36:39], v3 offset:20480
	s_waitcnt vmcnt(2) lgkmcnt(5)
	v_mul_f64 v[5:6], v[22:23], v[10:11]
	v_mul_f64 v[44:45], v[20:21], v[10:11]
	s_waitcnt lgkmcnt(4)
	v_mul_f64 v[46:47], v[26:27], v[10:11]
	v_mul_f64 v[10:11], v[24:25], v[10:11]
	s_waitcnt vmcnt(1) lgkmcnt(3)
	v_mul_f64 v[48:49], v[30:31], v[14:15]
	v_mul_f64 v[50:51], v[28:29], v[14:15]
	s_waitcnt vmcnt(0) lgkmcnt(2)
	v_mul_f64 v[52:53], v[34:35], v[18:19]
	v_mul_f64 v[54:55], v[32:33], v[18:19]
	s_waitcnt lgkmcnt(1)
	v_mul_f64 v[58:59], v[40:41], v[18:19]
	v_fma_f64 v[56:57], v[20:21], v[8:9], -v[5:6]
	v_fma_f64 v[22:23], v[22:23], v[8:9], v[44:45]
	v_fma_f64 v[24:25], v[24:25], v[8:9], -v[46:47]
	v_fma_f64 v[26:27], v[26:27], v[8:9], v[10:11]
	ds_read_b128 v[8:11], v3
	s_waitcnt lgkmcnt(1)
	v_mul_f64 v[44:45], v[38:39], v[14:15]
	v_mul_f64 v[14:15], v[36:37], v[14:15]
	;; [unrolled: 1-line block ×3, first 2 shown]
	v_mad_i32_i24 v6, 0xfffffe80, v7, v61
	v_fma_f64 v[28:29], v[28:29], v[12:13], -v[48:49]
	v_fma_f64 v[30:31], v[30:31], v[12:13], v[50:51]
	v_fma_f64 v[32:33], v[32:33], v[16:17], -v[52:53]
	v_fma_f64 v[34:35], v[34:35], v[16:17], v[54:55]
	ds_read_b128 v[18:21], v6
	v_lshlrev_b32_e32 v5, 2, v7
	s_waitcnt lgkmcnt(0)
	s_barrier
	buffer_gl0_inv
	v_fma_f64 v[36:37], v[36:37], v[12:13], -v[44:45]
	v_fma_f64 v[12:13], v[38:39], v[12:13], v[14:15]
	v_fma_f64 v[14:15], v[40:41], v[16:17], -v[46:47]
	v_fma_f64 v[16:17], v[42:43], v[16:17], v[58:59]
	v_add_f64 v[28:29], v[8:9], -v[28:29]
	v_add_f64 v[30:31], v[10:11], -v[30:31]
	v_add_f64 v[32:33], v[56:57], -v[32:33]
	v_add_f64 v[34:35], v[22:23], -v[34:35]
	v_lshlrev_b32_e32 v58, 2, v2
	v_add_f64 v[36:37], v[18:19], -v[36:37]
	v_add_f64 v[40:41], v[20:21], -v[12:13]
	;; [unrolled: 1-line block ×4, first 2 shown]
	v_fma_f64 v[38:39], v[8:9], 2.0, -v[28:29]
	v_fma_f64 v[42:43], v[10:11], 2.0, -v[30:31]
	;; [unrolled: 1-line block ×4, first 2 shown]
	v_add_f64 v[8:9], v[28:29], -v[34:35]
	v_add_f64 v[10:11], v[30:31], v[32:33]
	v_fma_f64 v[44:45], v[18:19], 2.0, -v[36:37]
	v_fma_f64 v[46:47], v[20:21], 2.0, -v[40:41]
	;; [unrolled: 1-line block ×4, first 2 shown]
	v_add_f64 v[12:13], v[36:37], -v[12:13]
	v_add_f64 v[14:15], v[40:41], v[14:15]
	v_add_f64 v[16:17], v[38:39], -v[16:17]
	v_add_f64 v[18:19], v[42:43], -v[22:23]
	v_fma_f64 v[26:27], v[30:31], 2.0, -v[10:11]
	v_add_f64 v[20:21], v[44:45], -v[20:21]
	v_add_f64 v[22:23], v[46:47], -v[24:25]
	v_fma_f64 v[24:25], v[28:29], 2.0, -v[8:9]
	v_fma_f64 v[28:29], v[36:37], 2.0, -v[12:13]
	;; [unrolled: 1-line block ×5, first 2 shown]
	v_and_or_b32 v40, 0x1f0, v58, v60
	v_and_or_b32 v41, 0x3f0, v5, v60
	v_mul_u32_u24_e32 v42, 3, v0
	v_lshlrev_b32_e32 v40, 7, v40
	v_lshlrev_b32_e32 v41, 7, v41
	;; [unrolled: 1-line block ×3, first 2 shown]
	v_add3_u32 v40, 0, v40, v4
	v_add3_u32 v41, 0, v41, v4
	v_fma_f64 v[36:37], v[44:45], 2.0, -v[20:21]
	v_fma_f64 v[38:39], v[46:47], 2.0, -v[22:23]
	ds_write_b128 v40, v[8:11] offset:1536
	ds_write_b128 v40, v[24:27] offset:512
	;; [unrolled: 1-line block ×3, first 2 shown]
	ds_write_b128 v40, v[32:35]
	ds_write_b128 v41, v[36:39]
	ds_write_b128 v41, v[28:31] offset:512
	ds_write_b128 v41, v[20:23] offset:1024
	;; [unrolled: 1-line block ×3, first 2 shown]
	s_waitcnt lgkmcnt(0)
	s_barrier
	buffer_gl0_inv
	s_clause 0x2
	global_load_dwordx4 v[8:11], v42, s[8:9] offset:192
	global_load_dwordx4 v[12:15], v42, s[8:9] offset:208
	global_load_dwordx4 v[16:19], v42, s[8:9] offset:224
	ds_read_b128 v[20:23], v3 offset:8192
	ds_read_b128 v[24:27], v3 offset:12288
	ds_read_b128 v[28:31], v3 offset:16384
	ds_read_b128 v[32:35], v3 offset:24576
	ds_read_b128 v[36:39], v3 offset:20480
	ds_read_b128 v[40:43], v3 offset:28672
	s_waitcnt vmcnt(2) lgkmcnt(5)
	v_mul_f64 v[44:45], v[22:23], v[10:11]
	v_mul_f64 v[46:47], v[20:21], v[10:11]
	s_waitcnt lgkmcnt(4)
	v_mul_f64 v[48:49], v[26:27], v[10:11]
	v_mul_f64 v[10:11], v[24:25], v[10:11]
	s_waitcnt vmcnt(1) lgkmcnt(3)
	v_mul_f64 v[50:51], v[30:31], v[14:15]
	v_mul_f64 v[52:53], v[28:29], v[14:15]
	s_waitcnt vmcnt(0) lgkmcnt(2)
	v_mul_f64 v[54:55], v[34:35], v[18:19]
	v_fma_f64 v[44:45], v[20:21], v[8:9], -v[44:45]
	v_mul_f64 v[20:21], v[32:33], v[18:19]
	v_fma_f64 v[22:23], v[22:23], v[8:9], v[46:47]
	s_waitcnt lgkmcnt(1)
	v_mul_f64 v[46:47], v[38:39], v[14:15]
	v_fma_f64 v[24:25], v[24:25], v[8:9], -v[48:49]
	v_fma_f64 v[26:27], v[26:27], v[8:9], v[10:11]
	ds_read_b128 v[8:11], v3
	v_mul_f64 v[14:15], v[36:37], v[14:15]
	s_waitcnt lgkmcnt(1)
	v_mul_f64 v[48:49], v[42:43], v[18:19]
	v_mul_f64 v[56:57], v[40:41], v[18:19]
	v_fma_f64 v[28:29], v[28:29], v[12:13], -v[50:51]
	v_fma_f64 v[30:31], v[30:31], v[12:13], v[52:53]
	v_fma_f64 v[32:33], v[32:33], v[16:17], -v[54:55]
	v_fma_f64 v[34:35], v[34:35], v[16:17], v[20:21]
	ds_read_b128 v[18:21], v6
	v_fma_f64 v[36:37], v[36:37], v[12:13], -v[46:47]
	s_waitcnt lgkmcnt(0)
	s_barrier
	buffer_gl0_inv
	v_fma_f64 v[12:13], v[38:39], v[12:13], v[14:15]
	v_fma_f64 v[14:15], v[40:41], v[16:17], -v[48:49]
	v_fma_f64 v[16:17], v[42:43], v[16:17], v[56:57]
	v_add_f64 v[28:29], v[8:9], -v[28:29]
	v_add_f64 v[30:31], v[10:11], -v[30:31]
	;; [unrolled: 1-line block ×8, first 2 shown]
	v_fma_f64 v[38:39], v[8:9], 2.0, -v[28:29]
	v_fma_f64 v[42:43], v[10:11], 2.0, -v[30:31]
	;; [unrolled: 1-line block ×3, first 2 shown]
	v_add_f64 v[10:11], v[30:31], v[32:33]
	v_fma_f64 v[22:23], v[22:23], 2.0, -v[34:35]
	v_add_f64 v[8:9], v[28:29], -v[34:35]
	v_fma_f64 v[44:45], v[18:19], 2.0, -v[36:37]
	v_fma_f64 v[46:47], v[20:21], 2.0, -v[40:41]
	;; [unrolled: 1-line block ×4, first 2 shown]
	v_add_f64 v[12:13], v[36:37], -v[12:13]
	v_add_f64 v[14:15], v[40:41], v[14:15]
	v_add_f64 v[16:17], v[38:39], -v[16:17]
	v_fma_f64 v[26:27], v[30:31], 2.0, -v[10:11]
	v_add_f64 v[18:19], v[42:43], -v[22:23]
	v_add_f64 v[20:21], v[44:45], -v[20:21]
	;; [unrolled: 1-line block ×3, first 2 shown]
	v_fma_f64 v[24:25], v[28:29], 2.0, -v[8:9]
	v_fma_f64 v[28:29], v[36:37], 2.0, -v[12:13]
	;; [unrolled: 1-line block ×4, first 2 shown]
	v_or_b32_e32 v40, s26, v1
	v_and_or_b32 v41, 0x1c0, v58, v0
	v_and_or_b32 v0, 0x3c0, v5, v0
	v_cmp_gt_u32_e32 vcc_lo, s14, v40
	v_lshlrev_b32_e32 v40, 7, v41
	v_lshlrev_b32_e32 v0, 7, v0
	v_fma_f64 v[34:35], v[42:43], 2.0, -v[18:19]
	s_or_b32 s3, s3, vcc_lo
	v_add3_u32 v40, 0, v40, v4
	v_add3_u32 v0, 0, v0, v4
	v_fma_f64 v[36:37], v[44:45], 2.0, -v[20:21]
	v_fma_f64 v[38:39], v[46:47], 2.0, -v[22:23]
	ds_write_b128 v40, v[8:11] offset:6144
	ds_write_b128 v40, v[24:27] offset:2048
	;; [unrolled: 1-line block ×3, first 2 shown]
	ds_write_b128 v40, v[32:35]
	ds_write_b128 v0, v[36:39]
	ds_write_b128 v0, v[28:31] offset:2048
	ds_write_b128 v0, v[20:23] offset:4096
	;; [unrolled: 1-line block ×3, first 2 shown]
	s_waitcnt lgkmcnt(0)
	s_barrier
	buffer_gl0_inv
	s_and_saveexec_b32 s13, s3
	s_cbranch_execz .LBB0_13
; %bb.12:
	v_mul_u32_u24_e32 v0, 3, v2
	v_and_b32_e32 v60, 63, v7
	s_load_dwordx2 s[4:5], s[4:5], 0x60
	s_mul_i32 s3, s1, s26
	s_mul_i32 s6, s6, s12
	v_lshlrev_b32_e32 v0, 4, v0
	v_mul_u32_u24_e32 v4, 3, v60
	v_and_or_b32 v5, 0x300, v5, v60
	s_clause 0x1
	global_load_dwordx4 v[8:11], v0, s[8:9] offset:976
	global_load_dwordx4 v[12:15], v0, s[8:9] offset:992
	v_lshlrev_b32_e32 v4, 4, v4
	s_clause 0x3
	global_load_dwordx4 v[16:19], v4, s[8:9] offset:960
	global_load_dwordx4 v[20:23], v4, s[8:9] offset:976
	;; [unrolled: 1-line block ×4, first 2 shown]
	ds_read_b128 v[32:35], v3 offset:16384
	ds_read_b128 v[36:39], v3 offset:24576
	ds_read_b128 v[40:43], v3 offset:12288
	ds_read_b128 v[44:47], v3 offset:20480
	ds_read_b128 v[48:51], v3 offset:28672
	s_mul_hi_u32 s9, s0, s26
	s_mul_i32 s8, s0, s26
	s_add_i32 s9, s9, s3
	s_lshl_b64 s[8:9], s[8:9], 4
	s_waitcnt vmcnt(5) lgkmcnt(0)
	v_mul_f64 v[52:53], v[32:33], v[10:11]
	v_mul_f64 v[10:11], v[34:35], v[10:11]
	s_waitcnt vmcnt(4)
	v_mul_f64 v[54:55], v[38:39], v[14:15]
	v_mul_f64 v[14:15], v[36:37], v[14:15]
	s_waitcnt vmcnt(2)
	v_mul_f64 v[56:57], v[44:45], v[22:23]
	v_mul_f64 v[22:23], v[46:47], v[22:23]
	v_fma_f64 v[34:35], v[34:35], v[8:9], v[52:53]
	v_fma_f64 v[32:33], v[32:33], v[8:9], -v[10:11]
	ds_read_b128 v[7:10], v3 offset:8192
	v_mul_f64 v[52:53], v[42:43], v[18:19]
	v_mul_f64 v[18:19], v[40:41], v[18:19]
	v_fma_f64 v[36:37], v[36:37], v[12:13], -v[54:55]
	s_waitcnt vmcnt(1)
	v_mul_f64 v[54:55], v[50:51], v[26:27]
	v_mul_f64 v[26:27], v[48:49], v[26:27]
	v_fma_f64 v[38:39], v[38:39], v[12:13], v[14:15]
	s_waitcnt vmcnt(0) lgkmcnt(0)
	v_mul_f64 v[58:59], v[9:10], v[30:31]
	v_mul_f64 v[30:31], v[7:8], v[30:31]
	v_fma_f64 v[40:41], v[40:41], v[16:17], -v[52:53]
	v_fma_f64 v[42:43], v[42:43], v[16:17], v[18:19]
	ds_read_b128 v[11:14], v6
	ds_read_b128 v[15:18], v3
	v_fma_f64 v[3:4], v[46:47], v[20:21], v[56:57]
	v_fma_f64 v[46:47], v[48:49], v[24:25], -v[54:55]
	v_fma_f64 v[24:25], v[50:51], v[24:25], v[26:27]
	v_fma_f64 v[19:20], v[44:45], v[20:21], -v[22:23]
	v_mad_u64_u32 v[21:22], null, s0, v1, 0
	v_mul_lo_u32 v44, v2, s2
	s_mul_i32 s0, s11, s15
	s_mul_hi_u32 s11, s10, s15
	s_mul_i32 s10, s10, s15
	s_add_i32 s11, s11, s0
	s_add_u32 s3, s4, s8
	v_mov_b32_e32 v0, v22
	s_addc_u32 s4, s5, s9
	v_mov_b32_e32 v45, 0
	v_fma_f64 v[6:7], v[7:8], v[28:29], -v[58:59]
	v_fma_f64 v[8:9], v[9:10], v[28:29], v[30:31]
	v_mad_u64_u32 v[0:1], null, s1, v1, v[0:1]
	s_waitcnt lgkmcnt(0)
	v_add_f64 v[26:27], v[17:18], -v[34:35]
	v_add_f64 v[28:29], v[15:16], -v[32:33]
	;; [unrolled: 1-line block ×6, first 2 shown]
	s_lshl_b64 s[0:1], s[6:7], 4
	v_mov_b32_e32 v22, v0
	s_add_u32 s3, s3, s0
	s_addc_u32 s4, s4, s1
	s_lshl_b64 s[0:1], s[10:11], 4
	v_lshlrev_b64 v[3:4], 4, v[44:45]
	s_add_u32 s0, s3, s0
	s_addc_u32 s1, s4, s1
	s_lshl_b32 s3, s2, 6
	v_lshlrev_b64 v[21:22], 4, v[21:22]
	v_add_nc_u32_e32 v44, s3, v44
	v_add_f64 v[34:35], v[6:7], -v[36:37]
	v_add_f64 v[19:20], v[8:9], -v[38:39]
	v_lshlrev_b64 v[48:49], 4, v[44:45]
	v_fma_f64 v[36:37], v[17:18], 2.0, -v[26:27]
	v_fma_f64 v[38:39], v[15:16], 2.0, -v[28:29]
	;; [unrolled: 1-line block ×6, first 2 shown]
	v_add_nc_u32_e32 v44, s3, v44
	v_add_co_u32 v56, vcc_lo, s0, v21
	v_add_co_ci_u32_e32 v57, vcc_lo, s1, v22, vcc_lo
	v_lshlrev_b64 v[21:22], 4, v[44:45]
	v_add_nc_u32_e32 v44, s3, v44
	v_add_co_u32 v50, vcc_lo, v56, v3
	v_add_co_ci_u32_e32 v51, vcc_lo, v57, v4, vcc_lo
	v_lshlrev_b64 v[52:53], 4, v[44:45]
	v_fma_f64 v[40:41], v[6:7], 2.0, -v[34:35]
	v_fma_f64 v[17:18], v[8:9], 2.0, -v[19:20]
	v_add_f64 v[6:7], v[26:27], v[34:35]
	v_mul_lo_u32 v44, v5, s2
	v_add_f64 v[4:5], v[28:29], -v[19:20]
	v_add_f64 v[2:3], v[30:31], v[1:2]
	v_add_f64 v[0:1], v[32:33], -v[23:24]
	v_add_co_u32 v34, vcc_lo, v56, v48
	v_add_f64 v[10:11], v[46:47], -v[13:14]
	v_add_f64 v[8:9], v[42:43], -v[15:16]
	v_add_co_ci_u32_e32 v35, vcc_lo, v57, v49, vcc_lo
	v_lshlrev_b64 v[48:49], 4, v[44:45]
	v_add_nc_u32_e32 v44, s3, v44
	v_lshlrev_b64 v[54:55], 4, v[44:45]
	v_add_nc_u32_e32 v44, s3, v44
	v_add_f64 v[12:13], v[38:39], -v[40:41]
	v_add_f64 v[14:15], v[36:37], -v[17:18]
	v_add_co_u32 v40, vcc_lo, v56, v21
	v_add_co_ci_u32_e32 v41, vcc_lo, v57, v22, vcc_lo
	v_fma_f64 v[22:23], v[26:27], 2.0, -v[6:7]
	v_fma_f64 v[20:21], v[28:29], 2.0, -v[4:5]
	;; [unrolled: 1-line block ×6, first 2 shown]
	v_add_co_u32 v52, vcc_lo, v56, v52
	v_add_co_ci_u32_e32 v53, vcc_lo, v57, v53, vcc_lo
	v_add_co_u32 v32, vcc_lo, v56, v48
	v_add_co_ci_u32_e32 v33, vcc_lo, v57, v49, vcc_lo
	v_fma_f64 v[24:25], v[38:39], 2.0, -v[12:13]
	v_fma_f64 v[26:27], v[36:37], 2.0, -v[14:15]
	v_lshlrev_b64 v[36:37], 4, v[44:45]
	v_add_nc_u32_e32 v44, s3, v44
	v_add_co_u32 v38, vcc_lo, v56, v54
	v_add_co_ci_u32_e32 v39, vcc_lo, v57, v55, vcc_lo
	v_lshlrev_b64 v[42:43], 4, v[44:45]
	v_add_co_u32 v36, vcc_lo, v56, v36
	v_add_co_ci_u32_e32 v37, vcc_lo, v57, v37, vcc_lo
	v_add_co_u32 v42, vcc_lo, v56, v42
	v_add_co_ci_u32_e32 v43, vcc_lo, v57, v43, vcc_lo
	global_store_dwordx4 v[50:51], v[24:27], off
	global_store_dwordx4 v[34:35], v[20:23], off
	;; [unrolled: 1-line block ×8, first 2 shown]
.LBB0_13:
	s_endpgm
	.section	.rodata,"a",@progbits
	.p2align	6, 0x0
	.amdhsa_kernel fft_rtc_fwd_len256_factors_4_4_4_4_wgs_256_tpt_32_dp_op_CI_CI_sbrc_xy_z_unaligned_dirReg
		.amdhsa_group_segment_fixed_size 0
		.amdhsa_private_segment_fixed_size 0
		.amdhsa_kernarg_size 104
		.amdhsa_user_sgpr_count 6
		.amdhsa_user_sgpr_private_segment_buffer 1
		.amdhsa_user_sgpr_dispatch_ptr 0
		.amdhsa_user_sgpr_queue_ptr 0
		.amdhsa_user_sgpr_kernarg_segment_ptr 1
		.amdhsa_user_sgpr_dispatch_id 0
		.amdhsa_user_sgpr_flat_scratch_init 0
		.amdhsa_user_sgpr_private_segment_size 0
		.amdhsa_wavefront_size32 1
		.amdhsa_uses_dynamic_stack 0
		.amdhsa_system_sgpr_private_segment_wavefront_offset 0
		.amdhsa_system_sgpr_workgroup_id_x 1
		.amdhsa_system_sgpr_workgroup_id_y 0
		.amdhsa_system_sgpr_workgroup_id_z 0
		.amdhsa_system_sgpr_workgroup_info 0
		.amdhsa_system_vgpr_workitem_id 0
		.amdhsa_next_free_vgpr 62
		.amdhsa_next_free_sgpr 32
		.amdhsa_reserve_vcc 1
		.amdhsa_reserve_flat_scratch 0
		.amdhsa_float_round_mode_32 0
		.amdhsa_float_round_mode_16_64 0
		.amdhsa_float_denorm_mode_32 3
		.amdhsa_float_denorm_mode_16_64 3
		.amdhsa_dx10_clamp 1
		.amdhsa_ieee_mode 1
		.amdhsa_fp16_overflow 0
		.amdhsa_workgroup_processor_mode 1
		.amdhsa_memory_ordered 1
		.amdhsa_forward_progress 0
		.amdhsa_shared_vgpr_count 0
		.amdhsa_exception_fp_ieee_invalid_op 0
		.amdhsa_exception_fp_denorm_src 0
		.amdhsa_exception_fp_ieee_div_zero 0
		.amdhsa_exception_fp_ieee_overflow 0
		.amdhsa_exception_fp_ieee_underflow 0
		.amdhsa_exception_fp_ieee_inexact 0
		.amdhsa_exception_int_div_zero 0
	.end_amdhsa_kernel
	.text
.Lfunc_end0:
	.size	fft_rtc_fwd_len256_factors_4_4_4_4_wgs_256_tpt_32_dp_op_CI_CI_sbrc_xy_z_unaligned_dirReg, .Lfunc_end0-fft_rtc_fwd_len256_factors_4_4_4_4_wgs_256_tpt_32_dp_op_CI_CI_sbrc_xy_z_unaligned_dirReg
                                        ; -- End function
	.section	.AMDGPU.csdata,"",@progbits
; Kernel info:
; codeLenInByte = 4076
; NumSgprs: 34
; NumVgprs: 62
; ScratchSize: 0
; MemoryBound: 0
; FloatMode: 240
; IeeeMode: 1
; LDSByteSize: 0 bytes/workgroup (compile time only)
; SGPRBlocks: 4
; VGPRBlocks: 7
; NumSGPRsForWavesPerEU: 34
; NumVGPRsForWavesPerEU: 62
; Occupancy: 16
; WaveLimiterHint : 1
; COMPUTE_PGM_RSRC2:SCRATCH_EN: 0
; COMPUTE_PGM_RSRC2:USER_SGPR: 6
; COMPUTE_PGM_RSRC2:TRAP_HANDLER: 0
; COMPUTE_PGM_RSRC2:TGID_X_EN: 1
; COMPUTE_PGM_RSRC2:TGID_Y_EN: 0
; COMPUTE_PGM_RSRC2:TGID_Z_EN: 0
; COMPUTE_PGM_RSRC2:TIDIG_COMP_CNT: 0
	.text
	.p2alignl 6, 3214868480
	.fill 48, 4, 3214868480
	.type	__hip_cuid_aac09638d1e01b56,@object ; @__hip_cuid_aac09638d1e01b56
	.section	.bss,"aw",@nobits
	.globl	__hip_cuid_aac09638d1e01b56
__hip_cuid_aac09638d1e01b56:
	.byte	0                               ; 0x0
	.size	__hip_cuid_aac09638d1e01b56, 1

	.ident	"AMD clang version 19.0.0git (https://github.com/RadeonOpenCompute/llvm-project roc-6.4.0 25133 c7fe45cf4b819c5991fe208aaa96edf142730f1d)"
	.section	".note.GNU-stack","",@progbits
	.addrsig
	.addrsig_sym __hip_cuid_aac09638d1e01b56
	.amdgpu_metadata
---
amdhsa.kernels:
  - .args:
      - .actual_access:  read_only
        .address_space:  global
        .offset:         0
        .size:           8
        .value_kind:     global_buffer
      - .offset:         8
        .size:           8
        .value_kind:     by_value
      - .actual_access:  read_only
        .address_space:  global
        .offset:         16
        .size:           8
        .value_kind:     global_buffer
      - .actual_access:  read_only
        .address_space:  global
        .offset:         24
        .size:           8
        .value_kind:     global_buffer
      - .actual_access:  read_only
        .address_space:  global
        .offset:         32
        .size:           8
        .value_kind:     global_buffer
      - .offset:         40
        .size:           8
        .value_kind:     by_value
      - .actual_access:  read_only
        .address_space:  global
        .offset:         48
        .size:           8
        .value_kind:     global_buffer
      - .actual_access:  read_only
        .address_space:  global
        .offset:         56
        .size:           8
        .value_kind:     global_buffer
      - .offset:         64
        .size:           4
        .value_kind:     by_value
      - .actual_access:  read_only
        .address_space:  global
        .offset:         72
        .size:           8
        .value_kind:     global_buffer
      - .actual_access:  read_only
        .address_space:  global
        .offset:         80
        .size:           8
        .value_kind:     global_buffer
      - .actual_access:  read_only
        .address_space:  global
        .offset:         88
        .size:           8
        .value_kind:     global_buffer
      - .actual_access:  write_only
        .address_space:  global
        .offset:         96
        .size:           8
        .value_kind:     global_buffer
    .group_segment_fixed_size: 0
    .kernarg_segment_align: 8
    .kernarg_segment_size: 104
    .language:       OpenCL C
    .language_version:
      - 2
      - 0
    .max_flat_workgroup_size: 256
    .name:           fft_rtc_fwd_len256_factors_4_4_4_4_wgs_256_tpt_32_dp_op_CI_CI_sbrc_xy_z_unaligned_dirReg
    .private_segment_fixed_size: 0
    .sgpr_count:     34
    .sgpr_spill_count: 0
    .symbol:         fft_rtc_fwd_len256_factors_4_4_4_4_wgs_256_tpt_32_dp_op_CI_CI_sbrc_xy_z_unaligned_dirReg.kd
    .uniform_work_group_size: 1
    .uses_dynamic_stack: false
    .vgpr_count:     62
    .vgpr_spill_count: 0
    .wavefront_size: 32
    .workgroup_processor_mode: 1
amdhsa.target:   amdgcn-amd-amdhsa--gfx1030
amdhsa.version:
  - 1
  - 2
...

	.end_amdgpu_metadata
